;; amdgpu-corpus repo=ROCm/rocFFT kind=compiled arch=gfx1201 opt=O3
	.text
	.amdgcn_target "amdgcn-amd-amdhsa--gfx1201"
	.amdhsa_code_object_version 6
	.protected	fft_rtc_fwd_len392_factors_8_7_7_wgs_56_tpt_56_half_ip_CI_unitstride_sbrr_R2C_dirReg ; -- Begin function fft_rtc_fwd_len392_factors_8_7_7_wgs_56_tpt_56_half_ip_CI_unitstride_sbrr_R2C_dirReg
	.globl	fft_rtc_fwd_len392_factors_8_7_7_wgs_56_tpt_56_half_ip_CI_unitstride_sbrr_R2C_dirReg
	.p2align	8
	.type	fft_rtc_fwd_len392_factors_8_7_7_wgs_56_tpt_56_half_ip_CI_unitstride_sbrr_R2C_dirReg,@function
fft_rtc_fwd_len392_factors_8_7_7_wgs_56_tpt_56_half_ip_CI_unitstride_sbrr_R2C_dirReg: ; @fft_rtc_fwd_len392_factors_8_7_7_wgs_56_tpt_56_half_ip_CI_unitstride_sbrr_R2C_dirReg
; %bb.0:
	s_clause 0x2
	s_load_b128 s[4:7], s[0:1], 0x0
	s_load_b64 s[8:9], s[0:1], 0x50
	s_load_b64 s[10:11], s[0:1], 0x18
	v_mul_u32_u24_e32 v1, 0x493, v0
	v_mov_b32_e32 v3, 0
	s_delay_alu instid0(VALU_DEP_2) | instskip(NEXT) | instid1(VALU_DEP_1)
	v_lshrrev_b32_e32 v1, 16, v1
	v_add_nc_u32_e32 v5, ttmp9, v1
	v_mov_b32_e32 v1, 0
	v_mov_b32_e32 v2, 0
	;; [unrolled: 1-line block ×3, first 2 shown]
	s_wait_kmcnt 0x0
	v_cmp_lt_u64_e64 s2, s[6:7], 2
	s_delay_alu instid0(VALU_DEP_1)
	s_and_b32 vcc_lo, exec_lo, s2
	s_cbranch_vccnz .LBB0_8
; %bb.1:
	s_load_b64 s[2:3], s[0:1], 0x10
	v_mov_b32_e32 v1, 0
	v_mov_b32_e32 v2, 0
	s_add_nc_u64 s[12:13], s[10:11], 8
	s_mov_b64 s[14:15], 1
	s_wait_kmcnt 0x0
	s_add_nc_u64 s[16:17], s[2:3], 8
	s_mov_b32 s3, 0
.LBB0_2:                                ; =>This Inner Loop Header: Depth=1
	s_load_b64 s[18:19], s[16:17], 0x0
                                        ; implicit-def: $vgpr7_vgpr8
	s_mov_b32 s2, exec_lo
	s_wait_kmcnt 0x0
	v_or_b32_e32 v4, s19, v6
	s_delay_alu instid0(VALU_DEP_1)
	v_cmpx_ne_u64_e32 0, v[3:4]
	s_wait_alu 0xfffe
	s_xor_b32 s20, exec_lo, s2
	s_cbranch_execz .LBB0_4
; %bb.3:                                ;   in Loop: Header=BB0_2 Depth=1
	s_cvt_f32_u32 s2, s18
	s_cvt_f32_u32 s21, s19
	s_sub_nc_u64 s[24:25], 0, s[18:19]
	s_wait_alu 0xfffe
	s_delay_alu instid0(SALU_CYCLE_1) | instskip(SKIP_1) | instid1(SALU_CYCLE_2)
	s_fmamk_f32 s2, s21, 0x4f800000, s2
	s_wait_alu 0xfffe
	v_s_rcp_f32 s2, s2
	s_delay_alu instid0(TRANS32_DEP_1) | instskip(SKIP_1) | instid1(SALU_CYCLE_2)
	s_mul_f32 s2, s2, 0x5f7ffffc
	s_wait_alu 0xfffe
	s_mul_f32 s21, s2, 0x2f800000
	s_wait_alu 0xfffe
	s_delay_alu instid0(SALU_CYCLE_2) | instskip(SKIP_1) | instid1(SALU_CYCLE_2)
	s_trunc_f32 s21, s21
	s_wait_alu 0xfffe
	s_fmamk_f32 s2, s21, 0xcf800000, s2
	s_cvt_u32_f32 s23, s21
	s_wait_alu 0xfffe
	s_delay_alu instid0(SALU_CYCLE_1) | instskip(SKIP_1) | instid1(SALU_CYCLE_2)
	s_cvt_u32_f32 s22, s2
	s_wait_alu 0xfffe
	s_mul_u64 s[26:27], s[24:25], s[22:23]
	s_wait_alu 0xfffe
	s_mul_hi_u32 s29, s22, s27
	s_mul_i32 s28, s22, s27
	s_mul_hi_u32 s2, s22, s26
	s_mul_i32 s30, s23, s26
	s_wait_alu 0xfffe
	s_add_nc_u64 s[28:29], s[2:3], s[28:29]
	s_mul_hi_u32 s21, s23, s26
	s_mul_hi_u32 s31, s23, s27
	s_add_co_u32 s2, s28, s30
	s_wait_alu 0xfffe
	s_add_co_ci_u32 s2, s29, s21
	s_mul_i32 s26, s23, s27
	s_add_co_ci_u32 s27, s31, 0
	s_wait_alu 0xfffe
	s_add_nc_u64 s[26:27], s[2:3], s[26:27]
	s_wait_alu 0xfffe
	v_add_co_u32 v4, s2, s22, s26
	s_delay_alu instid0(VALU_DEP_1) | instskip(SKIP_1) | instid1(VALU_DEP_1)
	s_cmp_lg_u32 s2, 0
	s_add_co_ci_u32 s23, s23, s27
	v_readfirstlane_b32 s22, v4
	s_wait_alu 0xfffe
	s_delay_alu instid0(VALU_DEP_1)
	s_mul_u64 s[24:25], s[24:25], s[22:23]
	s_wait_alu 0xfffe
	s_mul_hi_u32 s27, s22, s25
	s_mul_i32 s26, s22, s25
	s_mul_hi_u32 s2, s22, s24
	s_mul_i32 s28, s23, s24
	s_wait_alu 0xfffe
	s_add_nc_u64 s[26:27], s[2:3], s[26:27]
	s_mul_hi_u32 s21, s23, s24
	s_mul_hi_u32 s22, s23, s25
	s_wait_alu 0xfffe
	s_add_co_u32 s2, s26, s28
	s_add_co_ci_u32 s2, s27, s21
	s_mul_i32 s24, s23, s25
	s_add_co_ci_u32 s25, s22, 0
	s_wait_alu 0xfffe
	s_add_nc_u64 s[24:25], s[2:3], s[24:25]
	s_wait_alu 0xfffe
	v_add_co_u32 v4, s2, v4, s24
	s_delay_alu instid0(VALU_DEP_1) | instskip(SKIP_1) | instid1(VALU_DEP_1)
	s_cmp_lg_u32 s2, 0
	s_add_co_ci_u32 s2, s23, s25
	v_mul_hi_u32 v13, v5, v4
	s_wait_alu 0xfffe
	v_mad_co_u64_u32 v[7:8], null, v5, s2, 0
	v_mad_co_u64_u32 v[9:10], null, v6, v4, 0
	;; [unrolled: 1-line block ×3, first 2 shown]
	s_delay_alu instid0(VALU_DEP_3) | instskip(SKIP_1) | instid1(VALU_DEP_4)
	v_add_co_u32 v4, vcc_lo, v13, v7
	s_wait_alu 0xfffd
	v_add_co_ci_u32_e32 v7, vcc_lo, 0, v8, vcc_lo
	s_delay_alu instid0(VALU_DEP_2) | instskip(SKIP_1) | instid1(VALU_DEP_2)
	v_add_co_u32 v4, vcc_lo, v4, v9
	s_wait_alu 0xfffd
	v_add_co_ci_u32_e32 v4, vcc_lo, v7, v10, vcc_lo
	s_wait_alu 0xfffd
	v_add_co_ci_u32_e32 v7, vcc_lo, 0, v12, vcc_lo
	s_delay_alu instid0(VALU_DEP_2) | instskip(SKIP_1) | instid1(VALU_DEP_2)
	v_add_co_u32 v4, vcc_lo, v4, v11
	s_wait_alu 0xfffd
	v_add_co_ci_u32_e32 v9, vcc_lo, 0, v7, vcc_lo
	s_delay_alu instid0(VALU_DEP_2) | instskip(SKIP_1) | instid1(VALU_DEP_3)
	v_mul_lo_u32 v10, s19, v4
	v_mad_co_u64_u32 v[7:8], null, s18, v4, 0
	v_mul_lo_u32 v11, s18, v9
	s_delay_alu instid0(VALU_DEP_2) | instskip(NEXT) | instid1(VALU_DEP_2)
	v_sub_co_u32 v7, vcc_lo, v5, v7
	v_add3_u32 v8, v8, v11, v10
	s_delay_alu instid0(VALU_DEP_1) | instskip(SKIP_1) | instid1(VALU_DEP_1)
	v_sub_nc_u32_e32 v10, v6, v8
	s_wait_alu 0xfffd
	v_subrev_co_ci_u32_e64 v10, s2, s19, v10, vcc_lo
	v_add_co_u32 v11, s2, v4, 2
	s_wait_alu 0xf1ff
	v_add_co_ci_u32_e64 v12, s2, 0, v9, s2
	v_sub_co_u32 v13, s2, v7, s18
	v_sub_co_ci_u32_e32 v8, vcc_lo, v6, v8, vcc_lo
	s_wait_alu 0xf1ff
	v_subrev_co_ci_u32_e64 v10, s2, 0, v10, s2
	s_delay_alu instid0(VALU_DEP_3) | instskip(NEXT) | instid1(VALU_DEP_3)
	v_cmp_le_u32_e32 vcc_lo, s18, v13
	v_cmp_eq_u32_e64 s2, s19, v8
	s_wait_alu 0xfffd
	v_cndmask_b32_e64 v13, 0, -1, vcc_lo
	v_cmp_le_u32_e32 vcc_lo, s19, v10
	s_wait_alu 0xfffd
	v_cndmask_b32_e64 v14, 0, -1, vcc_lo
	v_cmp_le_u32_e32 vcc_lo, s18, v7
	;; [unrolled: 3-line block ×3, first 2 shown]
	s_wait_alu 0xfffd
	v_cndmask_b32_e64 v15, 0, -1, vcc_lo
	v_cmp_eq_u32_e32 vcc_lo, s19, v10
	s_wait_alu 0xf1ff
	s_delay_alu instid0(VALU_DEP_2)
	v_cndmask_b32_e64 v7, v15, v7, s2
	s_wait_alu 0xfffd
	v_cndmask_b32_e32 v10, v14, v13, vcc_lo
	v_add_co_u32 v13, vcc_lo, v4, 1
	s_wait_alu 0xfffd
	v_add_co_ci_u32_e32 v14, vcc_lo, 0, v9, vcc_lo
	s_delay_alu instid0(VALU_DEP_3) | instskip(SKIP_2) | instid1(VALU_DEP_3)
	v_cmp_ne_u32_e32 vcc_lo, 0, v10
	s_wait_alu 0xfffd
	v_cndmask_b32_e32 v10, v13, v11, vcc_lo
	v_cndmask_b32_e32 v8, v14, v12, vcc_lo
	v_cmp_ne_u32_e32 vcc_lo, 0, v7
	s_wait_alu 0xfffd
	s_delay_alu instid0(VALU_DEP_2)
	v_dual_cndmask_b32 v7, v4, v10 :: v_dual_cndmask_b32 v8, v9, v8
.LBB0_4:                                ;   in Loop: Header=BB0_2 Depth=1
	s_wait_alu 0xfffe
	s_and_not1_saveexec_b32 s2, s20
	s_cbranch_execz .LBB0_6
; %bb.5:                                ;   in Loop: Header=BB0_2 Depth=1
	v_cvt_f32_u32_e32 v4, s18
	s_sub_co_i32 s20, 0, s18
	s_delay_alu instid0(VALU_DEP_1) | instskip(NEXT) | instid1(TRANS32_DEP_1)
	v_rcp_iflag_f32_e32 v4, v4
	v_mul_f32_e32 v4, 0x4f7ffffe, v4
	s_delay_alu instid0(VALU_DEP_1) | instskip(SKIP_1) | instid1(VALU_DEP_1)
	v_cvt_u32_f32_e32 v4, v4
	s_wait_alu 0xfffe
	v_mul_lo_u32 v7, s20, v4
	s_delay_alu instid0(VALU_DEP_1) | instskip(NEXT) | instid1(VALU_DEP_1)
	v_mul_hi_u32 v7, v4, v7
	v_add_nc_u32_e32 v4, v4, v7
	s_delay_alu instid0(VALU_DEP_1) | instskip(NEXT) | instid1(VALU_DEP_1)
	v_mul_hi_u32 v4, v5, v4
	v_mul_lo_u32 v7, v4, s18
	v_add_nc_u32_e32 v8, 1, v4
	s_delay_alu instid0(VALU_DEP_2) | instskip(NEXT) | instid1(VALU_DEP_1)
	v_sub_nc_u32_e32 v7, v5, v7
	v_subrev_nc_u32_e32 v9, s18, v7
	v_cmp_le_u32_e32 vcc_lo, s18, v7
	s_wait_alu 0xfffd
	s_delay_alu instid0(VALU_DEP_2) | instskip(NEXT) | instid1(VALU_DEP_1)
	v_dual_cndmask_b32 v7, v7, v9 :: v_dual_cndmask_b32 v4, v4, v8
	v_cmp_le_u32_e32 vcc_lo, s18, v7
	s_delay_alu instid0(VALU_DEP_2) | instskip(SKIP_1) | instid1(VALU_DEP_1)
	v_add_nc_u32_e32 v8, 1, v4
	s_wait_alu 0xfffd
	v_dual_cndmask_b32 v7, v4, v8 :: v_dual_mov_b32 v8, v3
.LBB0_6:                                ;   in Loop: Header=BB0_2 Depth=1
	s_wait_alu 0xfffe
	s_or_b32 exec_lo, exec_lo, s2
	s_load_b64 s[20:21], s[12:13], 0x0
	s_delay_alu instid0(VALU_DEP_1)
	v_mul_lo_u32 v4, v8, s18
	v_mul_lo_u32 v11, v7, s19
	v_mad_co_u64_u32 v[9:10], null, v7, s18, 0
	s_add_nc_u64 s[14:15], s[14:15], 1
	s_add_nc_u64 s[12:13], s[12:13], 8
	s_wait_alu 0xfffe
	v_cmp_ge_u64_e64 s2, s[14:15], s[6:7]
	s_add_nc_u64 s[16:17], s[16:17], 8
	s_delay_alu instid0(VALU_DEP_2) | instskip(NEXT) | instid1(VALU_DEP_3)
	v_add3_u32 v4, v10, v11, v4
	v_sub_co_u32 v5, vcc_lo, v5, v9
	s_wait_alu 0xfffd
	s_delay_alu instid0(VALU_DEP_2) | instskip(SKIP_3) | instid1(VALU_DEP_2)
	v_sub_co_ci_u32_e32 v4, vcc_lo, v6, v4, vcc_lo
	s_and_b32 vcc_lo, exec_lo, s2
	s_wait_kmcnt 0x0
	v_mul_lo_u32 v6, s21, v5
	v_mul_lo_u32 v4, s20, v4
	v_mad_co_u64_u32 v[1:2], null, s20, v5, v[1:2]
	s_delay_alu instid0(VALU_DEP_1)
	v_add3_u32 v2, v6, v2, v4
	s_wait_alu 0xfffe
	s_cbranch_vccnz .LBB0_9
; %bb.7:                                ;   in Loop: Header=BB0_2 Depth=1
	v_dual_mov_b32 v5, v7 :: v_dual_mov_b32 v6, v8
	s_branch .LBB0_2
.LBB0_8:
	v_dual_mov_b32 v8, v6 :: v_dual_mov_b32 v7, v5
.LBB0_9:
	s_lshl_b64 s[2:3], s[6:7], 3
	v_mul_hi_u32 v3, 0x4924925, v0
	s_wait_alu 0xfffe
	s_add_nc_u64 s[2:3], s[10:11], s[2:3]
	s_load_b64 s[2:3], s[2:3], 0x0
	s_load_b64 s[0:1], s[0:1], 0x20
	s_delay_alu instid0(VALU_DEP_1) | instskip(NEXT) | instid1(VALU_DEP_1)
	v_mul_u32_u24_e32 v3, 56, v3
	v_sub_nc_u32_e32 v0, v0, v3
	s_delay_alu instid0(VALU_DEP_1)
	v_lshl_add_u32 v12, v0, 2, 0
	s_wait_kmcnt 0x0
	v_mul_lo_u32 v4, s2, v8
	v_mul_lo_u32 v5, s3, v7
	v_mad_co_u64_u32 v[1:2], null, s2, v7, v[1:2]
	v_cmp_gt_u64_e32 vcc_lo, s[0:1], v[7:8]
	s_delay_alu instid0(VALU_DEP_2) | instskip(NEXT) | instid1(VALU_DEP_1)
	v_add3_u32 v2, v5, v2, v4
	v_lshlrev_b64_e32 v[2:3], 2, v[1:2]
	s_and_saveexec_b32 s1, vcc_lo
	s_cbranch_execz .LBB0_11
; %bb.10:
	v_mov_b32_e32 v1, 0
	s_delay_alu instid0(VALU_DEP_1) | instskip(NEXT) | instid1(VALU_DEP_3)
	v_lshlrev_b64_e32 v[4:5], 2, v[0:1]
	v_add_co_u32 v1, s0, s8, v2
	s_wait_alu 0xf1ff
	v_add_co_ci_u32_e64 v6, s0, s9, v3, s0
	s_delay_alu instid0(VALU_DEP_2) | instskip(SKIP_1) | instid1(VALU_DEP_2)
	v_add_co_u32 v4, s0, v1, v4
	s_wait_alu 0xf1ff
	v_add_co_ci_u32_e64 v5, s0, v6, v5, s0
	s_clause 0x6
	global_load_b32 v1, v[4:5], off
	global_load_b32 v6, v[4:5], off offset:224
	global_load_b32 v7, v[4:5], off offset:448
	;; [unrolled: 1-line block ×6, first 2 shown]
	v_add_nc_u32_e32 v5, 0x200, v12
	s_wait_loadcnt 0x5
	ds_store_2addr_b32 v12, v1, v6 offset1:56
	s_wait_loadcnt 0x3
	ds_store_2addr_b32 v12, v7, v8 offset0:112 offset1:168
	s_wait_loadcnt 0x1
	ds_store_2addr_b32 v5, v9, v10 offset0:96 offset1:152
	s_wait_loadcnt 0x0
	ds_store_b32 v12, v4 offset:1344
.LBB0_11:
	s_wait_alu 0xfffe
	s_or_b32 exec_lo, exec_lo, s1
	v_add_nc_u32_e32 v1, 0x400, v12
	global_wb scope:SCOPE_SE
	s_wait_dscnt 0x0
	s_barrier_signal -1
	s_barrier_wait -1
	global_inv scope:SCOPE_SE
	ds_load_2addr_b32 v[6:7], v12 offset1:49
	ds_load_2addr_b32 v[4:5], v12 offset0:98 offset1:147
	ds_load_2addr_b32 v[8:9], v12 offset0:196 offset1:245
	;; [unrolled: 1-line block ×3, first 2 shown]
	s_mov_b32 s1, exec_lo
	global_wb scope:SCOPE_SE
	s_wait_dscnt 0x0
	s_barrier_signal -1
	s_barrier_wait -1
	global_inv scope:SCOPE_SE
	v_cmpx_gt_u32_e32 49, v0
	s_cbranch_execz .LBB0_13
; %bb.12:
	v_pk_add_f16 v1, v4, v10 neg_lo:[0,1] neg_hi:[0,1]
	v_pk_add_f16 v10, v5, v11 neg_lo:[0,1] neg_hi:[0,1]
	;; [unrolled: 1-line block ×4, first 2 shown]
	s_delay_alu instid0(VALU_DEP_4) | instskip(NEXT) | instid1(VALU_DEP_4)
	v_lshrrev_b32_e32 v11, 16, v1
	v_lshrrev_b32_e32 v13, 16, v10
	s_delay_alu instid0(VALU_DEP_4) | instskip(NEXT) | instid1(VALU_DEP_4)
	v_lshrrev_b32_e32 v14, 16, v9
	v_lshrrev_b32_e32 v15, 16, v8
	v_pk_fma_f16 v6, v6, 2.0, v8 op_sel_hi:[1,0,1] neg_lo:[0,0,1] neg_hi:[0,0,1]
	v_sub_f16_e32 v11, v8, v11
	v_sub_f16_e32 v13, v9, v13
	v_add_f16_e32 v16, v14, v10
	v_add_f16_e32 v17, v15, v1
	v_pk_fma_f16 v1, v4, 2.0, v1 op_sel_hi:[1,0,1] neg_lo:[0,0,1] neg_hi:[0,0,1]
	v_pk_fma_f16 v4, v7, 2.0, v9 op_sel_hi:[1,0,1] neg_lo:[0,0,1] neg_hi:[0,0,1]
	;; [unrolled: 1-line block ×3, first 2 shown]
	v_fma_f16 v8, v8, 2.0, -v11
	v_fmamk_f16 v10, v16, 0x39a8, v17
	v_fma_f16 v9, v9, 2.0, -v13
	v_fmamk_f16 v7, v13, 0x39a8, v11
	v_fma_f16 v14, v14, 2.0, -v16
	v_fma_f16 v15, v15, 2.0, -v17
	v_fmac_f16_e32 v10, 0x39a8, v13
	v_fmamk_f16 v13, v9, 0xb9a8, v8
	v_pk_add_f16 v5, v4, v5 neg_lo:[0,1] neg_hi:[0,1]
	v_pk_add_f16 v1, v6, v1 neg_lo:[0,1] neg_hi:[0,1]
	v_fmac_f16_e32 v7, 0xb9a8, v16
	v_fma_f16 v16, v17, 2.0, -v10
	v_fmac_f16_e32 v13, 0xb9a8, v14
	v_fmamk_f16 v14, v14, 0xb9a8, v15
	v_lshrrev_b32_e32 v17, 16, v5
	v_lshrrev_b32_e32 v18, 16, v1
	v_pk_fma_f16 v6, v6, 2.0, v1 op_sel_hi:[1,0,1] neg_lo:[0,0,1] neg_hi:[0,0,1]
	v_pk_fma_f16 v4, v4, 2.0, v5 op_sel_hi:[1,0,1] neg_lo:[0,0,1] neg_hi:[0,0,1]
	v_fmac_f16_e32 v14, 0x39a8, v9
	v_sub_f16_e32 v9, v1, v17
	v_add_f16_e32 v5, v18, v5
	v_fma_f16 v8, v8, 2.0, -v13
	v_pk_add_f16 v4, v6, v4 neg_lo:[0,1] neg_hi:[0,1]
	v_fma_f16 v15, v15, 2.0, -v14
	v_fma_f16 v11, v11, 2.0, -v7
	;; [unrolled: 1-line block ×4, first 2 shown]
	v_mad_u32_u24 v18, v0, 28, v12
	v_pk_fma_f16 v6, v6, 2.0, v4 op_sel_hi:[1,0,1] neg_lo:[0,0,1] neg_hi:[0,0,1]
	v_pack_b32_f16 v8, v8, v15
	v_pack_b32_f16 v11, v11, v16
	;; [unrolled: 1-line block ×6, first 2 shown]
	ds_store_2addr_b32 v18, v6, v8 offset1:1
	ds_store_2addr_b32 v18, v1, v11 offset0:2 offset1:3
	ds_store_2addr_b32 v18, v4, v13 offset0:4 offset1:5
	;; [unrolled: 1-line block ×3, first 2 shown]
.LBB0_13:
	s_wait_alu 0xfffe
	s_or_b32 exec_lo, exec_lo, s1
	v_and_b32_e32 v17, 7, v0
	global_wb scope:SCOPE_SE
	s_wait_dscnt 0x0
	s_barrier_signal -1
	s_barrier_wait -1
	global_inv scope:SCOPE_SE
	v_mul_u32_u24_e32 v1, 6, v17
	v_lshrrev_b32_e32 v19, 3, v0
	v_mul_u32_u24_e32 v20, 6, v0
	s_mov_b32 s1, exec_lo
	s_delay_alu instid0(VALU_DEP_3) | instskip(NEXT) | instid1(VALU_DEP_3)
	v_lshlrev_b32_e32 v1, 2, v1
	v_mul_u32_u24_e32 v19, 56, v19
	s_clause 0x1
	global_load_b128 v[4:7], v1, s[4:5]
	global_load_b64 v[8:9], v1, s[4:5] offset:16
	v_add_nc_u32_e32 v1, 0x200, v12
	ds_load_2addr_b32 v[10:11], v12 offset1:56
	ds_load_2addr_b32 v[13:14], v12 offset0:112 offset1:168
	ds_load_b32 v18, v12 offset:1344
	v_or_b32_e32 v17, v19, v17
	v_lshlrev_b32_e32 v19, 2, v20
	ds_load_2addr_b32 v[15:16], v1 offset0:96 offset1:152
	global_wb scope:SCOPE_SE
	s_wait_loadcnt_dscnt 0x0
	s_barrier_signal -1
	v_lshl_add_u32 v17, v17, 2, 0
	s_barrier_wait -1
	global_inv scope:SCOPE_SE
	v_lshrrev_b32_e32 v21, 16, v13
	v_lshrrev_b32_e32 v20, 16, v11
	;; [unrolled: 1-line block ×13, first 2 shown]
	v_mul_f16_e32 v33, v27, v20
	v_mul_f16_e32 v27, v27, v11
	;; [unrolled: 1-line block ×12, first 2 shown]
	v_fma_f16 v11, v4, v11, -v33
	v_fmac_f16_e32 v27, v4, v20
	v_fma_f16 v4, v5, v13, -v34
	v_fmac_f16_e32 v28, v5, v21
	;; [unrolled: 2-line block ×3, first 2 shown]
	v_fma_f16 v6, v7, v15, -v36
	v_fma_f16 v13, v9, v18, -v38
	v_fmac_f16_e32 v32, v9, v23
	v_fmac_f16_e32 v30, v7, v25
	v_fma_f16 v7, v8, v16, -v37
	v_fmac_f16_e32 v31, v8, v26
	v_add_f16_e32 v8, v11, v13
	v_add_f16_e32 v9, v27, v32
	v_sub_f16_e32 v11, v11, v13
	v_add_f16_e32 v14, v4, v7
	v_add_f16_e32 v15, v28, v31
	v_sub_f16_e32 v13, v27, v32
	v_sub_f16_e32 v4, v4, v7
	;; [unrolled: 1-line block ×3, first 2 shown]
	v_add_f16_e32 v16, v5, v6
	v_add_f16_e32 v18, v29, v30
	v_sub_f16_e32 v5, v6, v5
	v_sub_f16_e32 v6, v30, v29
	v_add_f16_e32 v20, v14, v8
	v_add_f16_e32 v21, v15, v9
	v_sub_f16_e32 v22, v14, v8
	v_sub_f16_e32 v23, v15, v9
	;; [unrolled: 1-line block ×6, first 2 shown]
	v_add_f16_e32 v25, v5, v4
	v_add_f16_e32 v26, v6, v7
	v_sub_f16_e32 v27, v5, v4
	v_sub_f16_e32 v28, v6, v7
	;; [unrolled: 1-line block ×4, first 2 shown]
	v_add_f16_e32 v16, v16, v20
	v_add_f16_e32 v18, v18, v21
	v_sub_f16_e32 v5, v11, v5
	v_sub_f16_e32 v6, v13, v6
	v_add_f16_e32 v11, v25, v11
	v_add_f16_e32 v13, v26, v13
	v_mul_f16_e32 v8, 0x3a52, v8
	v_mul_f16_e32 v9, 0x3a52, v9
	;; [unrolled: 1-line block ×8, first 2 shown]
	v_add_f16_e32 v10, v16, v10
	v_add_f16_e32 v24, v18, v24
	v_fmamk_f16 v14, v14, 0x2b26, v8
	v_fmamk_f16 v15, v15, 0x2b26, v9
	v_fma_f16 v20, v22, 0x39e0, -v20
	v_fma_f16 v21, v23, 0x39e0, -v21
	;; [unrolled: 1-line block ×4, first 2 shown]
	v_fmamk_f16 v22, v5, 0x3574, v25
	v_fmamk_f16 v23, v6, 0x3574, v26
	v_fma_f16 v4, v4, 0x3b00, -v25
	v_fma_f16 v7, v7, 0x3b00, -v26
	;; [unrolled: 1-line block ×4, first 2 shown]
	v_fmamk_f16 v16, v16, 0xbcab, v10
	v_fmamk_f16 v18, v18, 0xbcab, v24
	v_fmac_f16_e32 v22, 0x370e, v11
	v_fmac_f16_e32 v23, 0x370e, v13
	;; [unrolled: 1-line block ×6, first 2 shown]
	v_add_f16_e32 v11, v14, v16
	v_add_f16_e32 v13, v15, v18
	;; [unrolled: 1-line block ×7, first 2 shown]
	v_sub_f16_e32 v18, v13, v22
	v_pack_b32_f16 v10, v10, v24
	v_add_f16_e32 v20, v6, v8
	v_sub_f16_e32 v21, v9, v5
	v_sub_f16_e32 v24, v14, v7
	v_add_f16_e32 v25, v4, v15
	v_add_f16_e32 v7, v7, v14
	v_sub_f16_e32 v4, v15, v4
	v_sub_f16_e32 v6, v8, v6
	v_add_f16_e32 v5, v5, v9
	v_sub_f16_e32 v8, v11, v23
	v_add_f16_e32 v9, v22, v13
	v_pack_b32_f16 v11, v16, v18
	v_pack_b32_f16 v13, v20, v21
	;; [unrolled: 1-line block ×6, first 2 shown]
	ds_store_2addr_b32 v17, v10, v11 offset1:8
	ds_store_2addr_b32 v17, v13, v14 offset0:16 offset1:24
	ds_store_2addr_b32 v17, v4, v5 offset0:32 offset1:40
	ds_store_b32 v17, v6 offset:192
	global_wb scope:SCOPE_SE
	s_wait_dscnt 0x0
	s_barrier_signal -1
	s_barrier_wait -1
	global_inv scope:SCOPE_SE
	s_clause 0x1
	global_load_b128 v[4:7], v19, s[4:5] offset:192
	global_load_b64 v[8:9], v19, s[4:5] offset:208
	ds_load_2addr_b32 v[10:11], v12 offset1:56
	ds_load_2addr_b32 v[13:14], v12 offset0:112 offset1:168
	ds_load_2addr_b32 v[15:16], v1 offset0:96 offset1:152
	ds_load_b32 v17, v12 offset:1344
	global_wb scope:SCOPE_SE
	s_wait_loadcnt_dscnt 0x0
	s_barrier_signal -1
	s_barrier_wait -1
	global_inv scope:SCOPE_SE
	v_lshrrev_b32_e32 v18, 16, v11
	v_lshrrev_b32_e32 v19, 16, v13
	;; [unrolled: 1-line block ×13, first 2 shown]
	v_mul_f16_e32 v31, v25, v18
	v_mul_f16_e32 v25, v25, v11
	;; [unrolled: 1-line block ×12, first 2 shown]
	v_fma_f16 v11, v4, v11, -v31
	v_fmac_f16_e32 v25, v4, v18
	v_fma_f16 v4, v5, v13, -v32
	v_fmac_f16_e32 v26, v5, v19
	;; [unrolled: 2-line block ×3, first 2 shown]
	v_fma_f16 v6, v7, v15, -v34
	v_fma_f16 v13, v9, v17, -v36
	v_fmac_f16_e32 v30, v9, v23
	v_fmac_f16_e32 v28, v7, v21
	v_fma_f16 v7, v8, v16, -v35
	v_fmac_f16_e32 v29, v8, v22
	v_add_f16_e32 v8, v11, v13
	v_add_f16_e32 v9, v25, v30
	v_sub_f16_e32 v11, v11, v13
	v_add_f16_e32 v14, v4, v7
	v_add_f16_e32 v15, v26, v29
	v_sub_f16_e32 v13, v25, v30
	v_sub_f16_e32 v4, v4, v7
	;; [unrolled: 1-line block ×3, first 2 shown]
	v_add_f16_e32 v16, v5, v6
	v_add_f16_e32 v17, v27, v28
	v_sub_f16_e32 v5, v6, v5
	v_sub_f16_e32 v6, v28, v27
	v_add_f16_e32 v18, v14, v8
	v_add_f16_e32 v19, v15, v9
	v_sub_f16_e32 v20, v14, v8
	v_sub_f16_e32 v21, v15, v9
	;; [unrolled: 1-line block ×6, first 2 shown]
	v_add_f16_e32 v22, v5, v4
	v_add_f16_e32 v23, v6, v7
	v_sub_f16_e32 v25, v5, v4
	v_sub_f16_e32 v26, v6, v7
	;; [unrolled: 1-line block ×4, first 2 shown]
	v_add_f16_e32 v16, v16, v18
	v_add_f16_e32 v17, v17, v19
	v_sub_f16_e32 v5, v11, v5
	v_sub_f16_e32 v6, v13, v6
	v_add_f16_e32 v11, v22, v11
	v_add_f16_e32 v13, v23, v13
	v_mul_f16_e32 v8, 0x3a52, v8
	v_mul_f16_e32 v9, 0x3a52, v9
	;; [unrolled: 1-line block ×8, first 2 shown]
	v_add_f16_e32 v10, v16, v10
	v_add_f16_e32 v24, v17, v24
	v_fmamk_f16 v14, v14, 0x2b26, v8
	v_fmamk_f16 v15, v15, 0x2b26, v9
	v_fma_f16 v18, v20, 0x39e0, -v18
	v_fma_f16 v19, v21, 0x39e0, -v19
	v_fma_f16 v8, v20, 0xb9e0, -v8
	v_fma_f16 v9, v21, 0xb9e0, -v9
	v_fmamk_f16 v20, v5, 0x3574, v22
	v_fmamk_f16 v21, v6, 0x3574, v23
	v_fma_f16 v4, v4, 0x3b00, -v22
	v_fma_f16 v7, v7, 0x3b00, -v23
	;; [unrolled: 1-line block ×4, first 2 shown]
	v_fmamk_f16 v16, v16, 0xbcab, v10
	v_fmamk_f16 v17, v17, 0xbcab, v24
	v_fmac_f16_e32 v20, 0x370e, v11
	v_fmac_f16_e32 v21, 0x370e, v13
	;; [unrolled: 1-line block ×6, first 2 shown]
	v_add_f16_e32 v11, v14, v16
	v_add_f16_e32 v13, v15, v17
	v_add_f16_e32 v14, v18, v16
	v_add_f16_e32 v8, v8, v16
	v_add_f16_e32 v9, v9, v17
	v_add_f16_e32 v15, v19, v17
	v_add_f16_e32 v16, v21, v11
	v_sub_f16_e32 v17, v13, v20
	v_add_f16_e32 v18, v6, v8
	v_sub_f16_e32 v19, v9, v5
	v_sub_f16_e32 v22, v14, v7
	v_add_f16_e32 v23, v4, v15
	v_add_f16_e32 v7, v7, v14
	v_sub_f16_e32 v4, v15, v4
	v_sub_f16_e32 v6, v8, v6
	v_add_f16_e32 v5, v5, v9
	v_sub_f16_e32 v8, v11, v21
	v_add_f16_e32 v9, v20, v13
	v_pack_b32_f16 v10, v10, v24
	v_pack_b32_f16 v11, v16, v17
	;; [unrolled: 1-line block ×7, first 2 shown]
	ds_store_2addr_b32 v12, v10, v11 offset1:56
	ds_store_2addr_b32 v12, v13, v14 offset0:112 offset1:168
	ds_store_2addr_b32 v1, v4, v5 offset0:96 offset1:152
	ds_store_b32 v12, v6 offset:1344
	global_wb scope:SCOPE_SE
	s_wait_dscnt 0x0
	s_barrier_signal -1
	s_barrier_wait -1
	global_inv scope:SCOPE_SE
	ds_load_b32 v6, v12
	v_lshlrev_b32_e32 v1, 2, v0
                                        ; implicit-def: $vgpr11
                                        ; implicit-def: $vgpr10
                                        ; implicit-def: $vgpr9
                                        ; implicit-def: $vgpr4_vgpr5
	s_delay_alu instid0(VALU_DEP_1)
	v_sub_nc_u32_e32 v8, 0, v1
	s_wait_dscnt 0x0
	v_lshrrev_b32_e32 v7, 16, v6
	v_cmpx_ne_u32_e32 0, v0
	s_wait_alu 0xfffe
	s_xor_b32 s1, exec_lo, s1
	s_cbranch_execz .LBB0_15
; %bb.14:
	v_mov_b32_e32 v1, 0
	s_delay_alu instid0(VALU_DEP_1) | instskip(NEXT) | instid1(VALU_DEP_1)
	v_lshlrev_b64_e32 v[4:5], 2, v[0:1]
	v_add_co_u32 v4, s0, s4, v4
	s_wait_alu 0xf1ff
	s_delay_alu instid0(VALU_DEP_2)
	v_add_co_ci_u32_e64 v5, s0, s5, v5, s0
	global_load_b32 v4, v[4:5], off offset:1536
	ds_load_b32 v5, v8 offset:1568
	s_wait_dscnt 0x0
	v_lshrrev_b32_e32 v9, 16, v5
	v_sub_f16_e32 v10, v6, v5
	v_add_f16_e32 v5, v5, v6
	s_delay_alu instid0(VALU_DEP_3) | instskip(SKIP_1) | instid1(VALU_DEP_4)
	v_add_f16_e32 v11, v9, v7
	v_sub_f16_e32 v7, v7, v9
	v_mul_f16_e32 v13, 0.5, v10
	s_delay_alu instid0(VALU_DEP_3) | instskip(NEXT) | instid1(VALU_DEP_3)
	v_mul_f16_e32 v6, 0.5, v11
	v_mul_f16_e32 v7, 0.5, v7
	s_wait_loadcnt 0x0
	v_lshrrev_b32_e32 v9, 16, v4
	s_delay_alu instid0(VALU_DEP_1) | instskip(NEXT) | instid1(VALU_DEP_3)
	v_mul_f16_e32 v10, v9, v13
	v_fma_f16 v11, v6, v9, v7
	v_fma_f16 v7, v6, v9, -v7
	s_delay_alu instid0(VALU_DEP_3) | instskip(SKIP_1) | instid1(VALU_DEP_4)
	v_fma_f16 v14, 0.5, v5, v10
	v_fma_f16 v5, v5, 0.5, -v10
	v_fma_f16 v9, -v4, v13, v11
	s_delay_alu instid0(VALU_DEP_4) | instskip(NEXT) | instid1(VALU_DEP_4)
	v_fma_f16 v11, -v4, v13, v7
                                        ; implicit-def: $vgpr7
	v_fmac_f16_e32 v14, v4, v6
	s_delay_alu instid0(VALU_DEP_4)
	v_fma_f16 v10, -v4, v6, v5
	v_dual_mov_b32 v5, v1 :: v_dual_mov_b32 v4, v0
                                        ; implicit-def: $vgpr6
	ds_store_b16 v12, v14
.LBB0_15:
	s_wait_alu 0xfffe
	s_and_not1_saveexec_b32 s0, s1
	s_cbranch_execz .LBB0_17
; %bb.16:
	v_dual_mov_b32 v9, 0 :: v_dual_mov_b32 v4, 0
	v_add_f16_e32 v13, v7, v6
	v_sub_f16_e32 v10, v6, v7
	v_mov_b32_e32 v5, 0
	ds_load_u16 v1, v9 offset:786
	v_mov_b32_e32 v11, 0
	s_wait_dscnt 0x0
	v_xor_b32_e32 v1, 0x8000, v1
	ds_store_b16 v12, v13
	ds_store_b16 v9, v1 offset:786
.LBB0_17:
	s_wait_alu 0xfffe
	s_or_b32 exec_lo, exec_lo, s0
	v_lshlrev_b64_e32 v[4:5], 2, v[4:5]
	s_add_nc_u64 s[0:1], s[4:5], 0x600
	v_perm_b32 v10, v11, v10, 0x5040100
	s_wait_alu 0xfffe
	s_delay_alu instid0(VALU_DEP_2)
	v_add_co_u32 v6, s0, s0, v4
	s_wait_alu 0xf1ff
	v_add_co_ci_u32_e64 v7, s0, s1, v5, s0
	s_mov_b32 s1, exec_lo
	s_clause 0x1
	global_load_b32 v1, v[6:7], off offset:224
	global_load_b32 v13, v[6:7], off offset:448
	ds_store_b16 v12, v9 offset:2
	ds_store_b32 v8, v10 offset:1568
	ds_load_b32 v9, v8 offset:1344
	ds_load_b32 v10, v12 offset:224
	s_wait_dscnt 0x0
	v_pk_add_f16 v11, v10, v9 neg_lo:[0,1] neg_hi:[0,1]
	v_pk_add_f16 v9, v10, v9
	s_delay_alu instid0(VALU_DEP_1) | instskip(SKIP_1) | instid1(VALU_DEP_2)
	v_bfi_b32 v10, 0xffff, v11, v9
	v_bfi_b32 v9, 0xffff, v9, v11
	v_pk_mul_f16 v10, v10, 0.5 op_sel_hi:[1,0]
	s_delay_alu instid0(VALU_DEP_2) | instskip(SKIP_1) | instid1(VALU_DEP_1)
	v_pk_mul_f16 v9, v9, 0.5 op_sel_hi:[1,0]
	s_wait_loadcnt 0x1
	v_pk_fma_f16 v11, v1, v10, v9 op_sel:[1,0,0]
	v_pk_mul_f16 v14, v1, v10 op_sel_hi:[0,1]
	v_pk_fma_f16 v15, v1, v10, v9 op_sel:[1,0,0] neg_lo:[1,0,0] neg_hi:[1,0,0]
	v_pk_fma_f16 v1, v1, v10, v9 op_sel:[1,0,0] neg_lo:[0,0,1] neg_hi:[0,0,1]
	s_delay_alu instid0(VALU_DEP_3) | instskip(SKIP_1) | instid1(VALU_DEP_4)
	v_pk_add_f16 v9, v11, v14 op_sel:[0,1] op_sel_hi:[1,0]
	v_pk_add_f16 v10, v11, v14 op_sel:[0,1] op_sel_hi:[1,0] neg_lo:[0,1] neg_hi:[0,1]
	v_pk_add_f16 v11, v15, v14 op_sel:[0,1] op_sel_hi:[1,0] neg_lo:[0,1] neg_hi:[0,1]
	s_delay_alu instid0(VALU_DEP_4) | instskip(NEXT) | instid1(VALU_DEP_3)
	v_pk_add_f16 v1, v1, v14 op_sel:[0,1] op_sel_hi:[1,0] neg_lo:[0,1] neg_hi:[0,1]
	v_bfi_b32 v9, 0xffff, v9, v10
	s_delay_alu instid0(VALU_DEP_2)
	v_bfi_b32 v1, 0xffff, v11, v1
	ds_store_b32 v12, v9 offset:224
	ds_store_b32 v8, v1 offset:1344
	ds_load_b32 v1, v12 offset:448
	ds_load_b32 v9, v8 offset:1120
	s_wait_dscnt 0x0
	v_pk_add_f16 v10, v1, v9 neg_lo:[0,1] neg_hi:[0,1]
	v_pk_add_f16 v1, v1, v9
	s_delay_alu instid0(VALU_DEP_1) | instskip(SKIP_1) | instid1(VALU_DEP_2)
	v_bfi_b32 v9, 0xffff, v10, v1
	v_bfi_b32 v1, 0xffff, v1, v10
	v_pk_mul_f16 v9, v9, 0.5 op_sel_hi:[1,0]
	s_delay_alu instid0(VALU_DEP_2) | instskip(SKIP_1) | instid1(VALU_DEP_2)
	v_pk_mul_f16 v1, v1, 0.5 op_sel_hi:[1,0]
	s_wait_loadcnt 0x0
	v_pk_mul_f16 v11, v13, v9 op_sel_hi:[0,1]
	s_delay_alu instid0(VALU_DEP_2) | instskip(SKIP_2) | instid1(VALU_DEP_3)
	v_pk_fma_f16 v10, v13, v9, v1 op_sel:[1,0,0]
	v_pk_fma_f16 v14, v13, v9, v1 op_sel:[1,0,0] neg_lo:[1,0,0] neg_hi:[1,0,0]
	v_pk_fma_f16 v1, v13, v9, v1 op_sel:[1,0,0] neg_lo:[0,0,1] neg_hi:[0,0,1]
	v_pk_add_f16 v9, v10, v11 op_sel:[0,1] op_sel_hi:[1,0]
	v_pk_add_f16 v10, v10, v11 op_sel:[0,1] op_sel_hi:[1,0] neg_lo:[0,1] neg_hi:[0,1]
	s_delay_alu instid0(VALU_DEP_4) | instskip(NEXT) | instid1(VALU_DEP_4)
	v_pk_add_f16 v13, v14, v11 op_sel:[0,1] op_sel_hi:[1,0] neg_lo:[0,1] neg_hi:[0,1]
	v_pk_add_f16 v1, v1, v11 op_sel:[0,1] op_sel_hi:[1,0] neg_lo:[0,1] neg_hi:[0,1]
	s_delay_alu instid0(VALU_DEP_3) | instskip(NEXT) | instid1(VALU_DEP_2)
	v_bfi_b32 v9, 0xffff, v9, v10
	v_bfi_b32 v1, 0xffff, v13, v1
	ds_store_b32 v12, v9 offset:448
	ds_store_b32 v8, v1 offset:1120
	v_cmpx_gt_u32_e32 28, v0
	s_cbranch_execz .LBB0_19
; %bb.18:
	global_load_b32 v1, v[6:7], off offset:672
	ds_load_b32 v6, v12 offset:672
	ds_load_b32 v7, v8 offset:896
	s_wait_dscnt 0x0
	v_pk_add_f16 v9, v6, v7 neg_lo:[0,1] neg_hi:[0,1]
	v_pk_add_f16 v6, v6, v7
	s_delay_alu instid0(VALU_DEP_1) | instskip(SKIP_1) | instid1(VALU_DEP_2)
	v_bfi_b32 v7, 0xffff, v9, v6
	v_bfi_b32 v6, 0xffff, v6, v9
	v_pk_mul_f16 v7, v7, 0.5 op_sel_hi:[1,0]
	s_delay_alu instid0(VALU_DEP_2) | instskip(SKIP_1) | instid1(VALU_DEP_1)
	v_pk_mul_f16 v6, v6, 0.5 op_sel_hi:[1,0]
	s_wait_loadcnt 0x0
	v_pk_fma_f16 v9, v1, v7, v6 op_sel:[1,0,0]
	v_pk_mul_f16 v10, v1, v7 op_sel_hi:[0,1]
	v_pk_fma_f16 v11, v1, v7, v6 op_sel:[1,0,0] neg_lo:[1,0,0] neg_hi:[1,0,0]
	v_pk_fma_f16 v1, v1, v7, v6 op_sel:[1,0,0] neg_lo:[0,0,1] neg_hi:[0,0,1]
	s_delay_alu instid0(VALU_DEP_3) | instskip(SKIP_1) | instid1(VALU_DEP_4)
	v_pk_add_f16 v6, v9, v10 op_sel:[0,1] op_sel_hi:[1,0]
	v_pk_add_f16 v7, v9, v10 op_sel:[0,1] op_sel_hi:[1,0] neg_lo:[0,1] neg_hi:[0,1]
	v_pk_add_f16 v9, v11, v10 op_sel:[0,1] op_sel_hi:[1,0] neg_lo:[0,1] neg_hi:[0,1]
	s_delay_alu instid0(VALU_DEP_4) | instskip(NEXT) | instid1(VALU_DEP_3)
	v_pk_add_f16 v1, v1, v10 op_sel:[0,1] op_sel_hi:[1,0] neg_lo:[0,1] neg_hi:[0,1]
	v_bfi_b32 v6, 0xffff, v6, v7
	s_delay_alu instid0(VALU_DEP_2)
	v_bfi_b32 v1, 0xffff, v9, v1
	ds_store_b32 v12, v6 offset:672
	ds_store_b32 v8, v1 offset:896
.LBB0_19:
	s_wait_alu 0xfffe
	s_or_b32 exec_lo, exec_lo, s1
	global_wb scope:SCOPE_SE
	s_wait_dscnt 0x0
	s_barrier_signal -1
	s_barrier_wait -1
	global_inv scope:SCOPE_SE
	s_and_saveexec_b32 s0, vcc_lo
	s_cbranch_execz .LBB0_22
; %bb.20:
	v_add_nc_u32_e32 v1, 0x200, v12
	ds_load_2addr_b32 v[6:7], v12 offset1:56
	ds_load_2addr_b32 v[8:9], v12 offset0:112 offset1:168
	ds_load_2addr_b32 v[10:11], v1 offset0:96 offset1:152
	ds_load_b32 v12, v12 offset:1344
	v_add_co_u32 v1, vcc_lo, s8, v2
	s_wait_alu 0xfffd
	v_add_co_ci_u32_e32 v2, vcc_lo, s9, v3, vcc_lo
	s_delay_alu instid0(VALU_DEP_2) | instskip(SKIP_1) | instid1(VALU_DEP_2)
	v_add_co_u32 v3, vcc_lo, v1, v4
	s_wait_alu 0xfffd
	v_add_co_ci_u32_e32 v4, vcc_lo, v2, v5, vcc_lo
	v_cmp_eq_u32_e32 vcc_lo, 55, v0
	s_wait_dscnt 0x3
	s_clause 0x1
	global_store_b32 v[3:4], v6, off
	global_store_b32 v[3:4], v7, off offset:224
	s_wait_dscnt 0x2
	s_clause 0x1
	global_store_b32 v[3:4], v8, off offset:448
	global_store_b32 v[3:4], v9, off offset:672
	s_wait_dscnt 0x1
	s_clause 0x1
	global_store_b32 v[3:4], v10, off offset:896
	global_store_b32 v[3:4], v11, off offset:1120
	s_wait_dscnt 0x0
	global_store_b32 v[3:4], v12, off offset:1344
	s_and_b32 exec_lo, exec_lo, vcc_lo
	s_cbranch_execz .LBB0_22
; %bb.21:
	v_mov_b32_e32 v0, 0
	ds_load_b32 v0, v0 offset:1568
	s_wait_dscnt 0x0
	global_store_b32 v[1:2], v0, off offset:1568
.LBB0_22:
	s_nop 0
	s_sendmsg sendmsg(MSG_DEALLOC_VGPRS)
	s_endpgm
	.section	.rodata,"a",@progbits
	.p2align	6, 0x0
	.amdhsa_kernel fft_rtc_fwd_len392_factors_8_7_7_wgs_56_tpt_56_half_ip_CI_unitstride_sbrr_R2C_dirReg
		.amdhsa_group_segment_fixed_size 0
		.amdhsa_private_segment_fixed_size 0
		.amdhsa_kernarg_size 88
		.amdhsa_user_sgpr_count 2
		.amdhsa_user_sgpr_dispatch_ptr 0
		.amdhsa_user_sgpr_queue_ptr 0
		.amdhsa_user_sgpr_kernarg_segment_ptr 1
		.amdhsa_user_sgpr_dispatch_id 0
		.amdhsa_user_sgpr_private_segment_size 0
		.amdhsa_wavefront_size32 1
		.amdhsa_uses_dynamic_stack 0
		.amdhsa_enable_private_segment 0
		.amdhsa_system_sgpr_workgroup_id_x 1
		.amdhsa_system_sgpr_workgroup_id_y 0
		.amdhsa_system_sgpr_workgroup_id_z 0
		.amdhsa_system_sgpr_workgroup_info 0
		.amdhsa_system_vgpr_workitem_id 0
		.amdhsa_next_free_vgpr 39
		.amdhsa_next_free_sgpr 32
		.amdhsa_reserve_vcc 1
		.amdhsa_float_round_mode_32 0
		.amdhsa_float_round_mode_16_64 0
		.amdhsa_float_denorm_mode_32 3
		.amdhsa_float_denorm_mode_16_64 3
		.amdhsa_fp16_overflow 0
		.amdhsa_workgroup_processor_mode 1
		.amdhsa_memory_ordered 1
		.amdhsa_forward_progress 0
		.amdhsa_round_robin_scheduling 0
		.amdhsa_exception_fp_ieee_invalid_op 0
		.amdhsa_exception_fp_denorm_src 0
		.amdhsa_exception_fp_ieee_div_zero 0
		.amdhsa_exception_fp_ieee_overflow 0
		.amdhsa_exception_fp_ieee_underflow 0
		.amdhsa_exception_fp_ieee_inexact 0
		.amdhsa_exception_int_div_zero 0
	.end_amdhsa_kernel
	.text
.Lfunc_end0:
	.size	fft_rtc_fwd_len392_factors_8_7_7_wgs_56_tpt_56_half_ip_CI_unitstride_sbrr_R2C_dirReg, .Lfunc_end0-fft_rtc_fwd_len392_factors_8_7_7_wgs_56_tpt_56_half_ip_CI_unitstride_sbrr_R2C_dirReg
                                        ; -- End function
	.section	.AMDGPU.csdata,"",@progbits
; Kernel info:
; codeLenInByte = 5184
; NumSgprs: 34
; NumVgprs: 39
; ScratchSize: 0
; MemoryBound: 0
; FloatMode: 240
; IeeeMode: 1
; LDSByteSize: 0 bytes/workgroup (compile time only)
; SGPRBlocks: 4
; VGPRBlocks: 4
; NumSGPRsForWavesPerEU: 34
; NumVGPRsForWavesPerEU: 39
; Occupancy: 16
; WaveLimiterHint : 1
; COMPUTE_PGM_RSRC2:SCRATCH_EN: 0
; COMPUTE_PGM_RSRC2:USER_SGPR: 2
; COMPUTE_PGM_RSRC2:TRAP_HANDLER: 0
; COMPUTE_PGM_RSRC2:TGID_X_EN: 1
; COMPUTE_PGM_RSRC2:TGID_Y_EN: 0
; COMPUTE_PGM_RSRC2:TGID_Z_EN: 0
; COMPUTE_PGM_RSRC2:TIDIG_COMP_CNT: 0
	.text
	.p2alignl 7, 3214868480
	.fill 96, 4, 3214868480
	.type	__hip_cuid_1ead9e9a364d311a,@object ; @__hip_cuid_1ead9e9a364d311a
	.section	.bss,"aw",@nobits
	.globl	__hip_cuid_1ead9e9a364d311a
__hip_cuid_1ead9e9a364d311a:
	.byte	0                               ; 0x0
	.size	__hip_cuid_1ead9e9a364d311a, 1

	.ident	"AMD clang version 19.0.0git (https://github.com/RadeonOpenCompute/llvm-project roc-6.4.0 25133 c7fe45cf4b819c5991fe208aaa96edf142730f1d)"
	.section	".note.GNU-stack","",@progbits
	.addrsig
	.addrsig_sym __hip_cuid_1ead9e9a364d311a
	.amdgpu_metadata
---
amdhsa.kernels:
  - .args:
      - .actual_access:  read_only
        .address_space:  global
        .offset:         0
        .size:           8
        .value_kind:     global_buffer
      - .offset:         8
        .size:           8
        .value_kind:     by_value
      - .actual_access:  read_only
        .address_space:  global
        .offset:         16
        .size:           8
        .value_kind:     global_buffer
      - .actual_access:  read_only
        .address_space:  global
        .offset:         24
        .size:           8
        .value_kind:     global_buffer
      - .offset:         32
        .size:           8
        .value_kind:     by_value
      - .actual_access:  read_only
        .address_space:  global
        .offset:         40
        .size:           8
        .value_kind:     global_buffer
      - .actual_access:  read_only
        .address_space:  global
        .offset:         48
        .size:           8
        .value_kind:     global_buffer
      - .offset:         56
        .size:           4
        .value_kind:     by_value
      - .actual_access:  read_only
        .address_space:  global
        .offset:         64
        .size:           8
        .value_kind:     global_buffer
      - .actual_access:  read_only
        .address_space:  global
        .offset:         72
        .size:           8
        .value_kind:     global_buffer
      - .address_space:  global
        .offset:         80
        .size:           8
        .value_kind:     global_buffer
    .group_segment_fixed_size: 0
    .kernarg_segment_align: 8
    .kernarg_segment_size: 88
    .language:       OpenCL C
    .language_version:
      - 2
      - 0
    .max_flat_workgroup_size: 56
    .name:           fft_rtc_fwd_len392_factors_8_7_7_wgs_56_tpt_56_half_ip_CI_unitstride_sbrr_R2C_dirReg
    .private_segment_fixed_size: 0
    .sgpr_count:     34
    .sgpr_spill_count: 0
    .symbol:         fft_rtc_fwd_len392_factors_8_7_7_wgs_56_tpt_56_half_ip_CI_unitstride_sbrr_R2C_dirReg.kd
    .uniform_work_group_size: 1
    .uses_dynamic_stack: false
    .vgpr_count:     39
    .vgpr_spill_count: 0
    .wavefront_size: 32
    .workgroup_processor_mode: 1
amdhsa.target:   amdgcn-amd-amdhsa--gfx1201
amdhsa.version:
  - 1
  - 2
...

	.end_amdgpu_metadata
